;; amdgpu-corpus repo=ROCm/rocFFT kind=compiled arch=gfx1030 opt=O3
	.text
	.amdgcn_target "amdgcn-amd-amdhsa--gfx1030"
	.amdhsa_code_object_version 6
	.protected	fft_rtc_back_len280_factors_8_7_5_wgs_56_tpt_56_dp_op_CI_CI_unitstride_sbrr_C2R_dirReg ; -- Begin function fft_rtc_back_len280_factors_8_7_5_wgs_56_tpt_56_dp_op_CI_CI_unitstride_sbrr_C2R_dirReg
	.globl	fft_rtc_back_len280_factors_8_7_5_wgs_56_tpt_56_dp_op_CI_CI_unitstride_sbrr_C2R_dirReg
	.p2align	8
	.type	fft_rtc_back_len280_factors_8_7_5_wgs_56_tpt_56_dp_op_CI_CI_unitstride_sbrr_C2R_dirReg,@function
fft_rtc_back_len280_factors_8_7_5_wgs_56_tpt_56_dp_op_CI_CI_unitstride_sbrr_C2R_dirReg: ; @fft_rtc_back_len280_factors_8_7_5_wgs_56_tpt_56_dp_op_CI_CI_unitstride_sbrr_C2R_dirReg
; %bb.0:
	s_clause 0x2
	s_load_dwordx4 s[12:15], s[4:5], 0x0
	s_load_dwordx4 s[8:11], s[4:5], 0x58
	;; [unrolled: 1-line block ×3, first 2 shown]
	v_mul_u32_u24_e32 v1, 0x493, v0
	v_mov_b32_e32 v3, 0
	v_add_nc_u32_sdwa v5, s6, v1 dst_sel:DWORD dst_unused:UNUSED_PAD src0_sel:DWORD src1_sel:WORD_1
	v_mov_b32_e32 v1, 0
	v_mov_b32_e32 v6, v3
	v_mov_b32_e32 v2, 0
	s_waitcnt lgkmcnt(0)
	v_cmp_lt_u64_e64 s0, s[14:15], 2
	s_and_b32 vcc_lo, exec_lo, s0
	s_cbranch_vccnz .LBB0_8
; %bb.1:
	s_load_dwordx2 s[0:1], s[4:5], 0x10
	v_mov_b32_e32 v1, 0
	v_mov_b32_e32 v2, 0
	s_add_u32 s2, s18, 8
	s_addc_u32 s3, s19, 0
	s_add_u32 s6, s16, 8
	s_addc_u32 s7, s17, 0
	v_mov_b32_e32 v33, v2
	v_mov_b32_e32 v32, v1
	s_mov_b64 s[22:23], 1
	s_waitcnt lgkmcnt(0)
	s_add_u32 s20, s0, 8
	s_addc_u32 s21, s1, 0
.LBB0_2:                                ; =>This Inner Loop Header: Depth=1
	s_load_dwordx2 s[24:25], s[20:21], 0x0
                                        ; implicit-def: $vgpr34_vgpr35
	s_mov_b32 s0, exec_lo
	s_waitcnt lgkmcnt(0)
	v_or_b32_e32 v4, s25, v6
	v_cmpx_ne_u64_e32 0, v[3:4]
	s_xor_b32 s1, exec_lo, s0
	s_cbranch_execz .LBB0_4
; %bb.3:                                ;   in Loop: Header=BB0_2 Depth=1
	v_cvt_f32_u32_e32 v4, s24
	v_cvt_f32_u32_e32 v7, s25
	s_sub_u32 s0, 0, s24
	s_subb_u32 s26, 0, s25
	v_fmac_f32_e32 v4, 0x4f800000, v7
	v_rcp_f32_e32 v4, v4
	v_mul_f32_e32 v4, 0x5f7ffffc, v4
	v_mul_f32_e32 v7, 0x2f800000, v4
	v_trunc_f32_e32 v7, v7
	v_fmac_f32_e32 v4, 0xcf800000, v7
	v_cvt_u32_f32_e32 v7, v7
	v_cvt_u32_f32_e32 v4, v4
	v_mul_lo_u32 v8, s0, v7
	v_mul_hi_u32 v9, s0, v4
	v_mul_lo_u32 v10, s26, v4
	v_add_nc_u32_e32 v8, v9, v8
	v_mul_lo_u32 v9, s0, v4
	v_add_nc_u32_e32 v8, v8, v10
	v_mul_hi_u32 v10, v4, v9
	v_mul_lo_u32 v11, v4, v8
	v_mul_hi_u32 v12, v4, v8
	v_mul_hi_u32 v13, v7, v9
	v_mul_lo_u32 v9, v7, v9
	v_mul_hi_u32 v14, v7, v8
	v_mul_lo_u32 v8, v7, v8
	v_add_co_u32 v10, vcc_lo, v10, v11
	v_add_co_ci_u32_e32 v11, vcc_lo, 0, v12, vcc_lo
	v_add_co_u32 v9, vcc_lo, v10, v9
	v_add_co_ci_u32_e32 v9, vcc_lo, v11, v13, vcc_lo
	v_add_co_ci_u32_e32 v10, vcc_lo, 0, v14, vcc_lo
	v_add_co_u32 v8, vcc_lo, v9, v8
	v_add_co_ci_u32_e32 v9, vcc_lo, 0, v10, vcc_lo
	v_add_co_u32 v4, vcc_lo, v4, v8
	v_add_co_ci_u32_e32 v7, vcc_lo, v7, v9, vcc_lo
	v_mul_hi_u32 v8, s0, v4
	v_mul_lo_u32 v10, s26, v4
	v_mul_lo_u32 v9, s0, v7
	v_add_nc_u32_e32 v8, v8, v9
	v_mul_lo_u32 v9, s0, v4
	v_add_nc_u32_e32 v8, v8, v10
	v_mul_hi_u32 v10, v4, v9
	v_mul_lo_u32 v11, v4, v8
	v_mul_hi_u32 v12, v4, v8
	v_mul_hi_u32 v13, v7, v9
	v_mul_lo_u32 v9, v7, v9
	v_mul_hi_u32 v14, v7, v8
	v_mul_lo_u32 v8, v7, v8
	v_add_co_u32 v10, vcc_lo, v10, v11
	v_add_co_ci_u32_e32 v11, vcc_lo, 0, v12, vcc_lo
	v_add_co_u32 v9, vcc_lo, v10, v9
	v_add_co_ci_u32_e32 v9, vcc_lo, v11, v13, vcc_lo
	v_add_co_ci_u32_e32 v10, vcc_lo, 0, v14, vcc_lo
	v_add_co_u32 v8, vcc_lo, v9, v8
	v_add_co_ci_u32_e32 v9, vcc_lo, 0, v10, vcc_lo
	v_add_co_u32 v4, vcc_lo, v4, v8
	v_add_co_ci_u32_e32 v11, vcc_lo, v7, v9, vcc_lo
	v_mul_hi_u32 v13, v5, v4
	v_mad_u64_u32 v[9:10], null, v6, v4, 0
	v_mad_u64_u32 v[7:8], null, v5, v11, 0
	;; [unrolled: 1-line block ×3, first 2 shown]
	v_add_co_u32 v4, vcc_lo, v13, v7
	v_add_co_ci_u32_e32 v7, vcc_lo, 0, v8, vcc_lo
	v_add_co_u32 v4, vcc_lo, v4, v9
	v_add_co_ci_u32_e32 v4, vcc_lo, v7, v10, vcc_lo
	v_add_co_ci_u32_e32 v7, vcc_lo, 0, v12, vcc_lo
	v_add_co_u32 v4, vcc_lo, v4, v11
	v_add_co_ci_u32_e32 v9, vcc_lo, 0, v7, vcc_lo
	v_mul_lo_u32 v10, s25, v4
	v_mad_u64_u32 v[7:8], null, s24, v4, 0
	v_mul_lo_u32 v11, s24, v9
	v_sub_co_u32 v7, vcc_lo, v5, v7
	v_add3_u32 v8, v8, v11, v10
	v_sub_nc_u32_e32 v10, v6, v8
	v_subrev_co_ci_u32_e64 v10, s0, s25, v10, vcc_lo
	v_add_co_u32 v11, s0, v4, 2
	v_add_co_ci_u32_e64 v12, s0, 0, v9, s0
	v_sub_co_u32 v13, s0, v7, s24
	v_sub_co_ci_u32_e32 v8, vcc_lo, v6, v8, vcc_lo
	v_subrev_co_ci_u32_e64 v10, s0, 0, v10, s0
	v_cmp_le_u32_e32 vcc_lo, s24, v13
	v_cmp_eq_u32_e64 s0, s25, v8
	v_cndmask_b32_e64 v13, 0, -1, vcc_lo
	v_cmp_le_u32_e32 vcc_lo, s25, v10
	v_cndmask_b32_e64 v14, 0, -1, vcc_lo
	v_cmp_le_u32_e32 vcc_lo, s24, v7
	;; [unrolled: 2-line block ×3, first 2 shown]
	v_cndmask_b32_e64 v15, 0, -1, vcc_lo
	v_cmp_eq_u32_e32 vcc_lo, s25, v10
	v_cndmask_b32_e64 v7, v15, v7, s0
	v_cndmask_b32_e32 v10, v14, v13, vcc_lo
	v_add_co_u32 v13, vcc_lo, v4, 1
	v_add_co_ci_u32_e32 v14, vcc_lo, 0, v9, vcc_lo
	v_cmp_ne_u32_e32 vcc_lo, 0, v10
	v_cndmask_b32_e32 v8, v14, v12, vcc_lo
	v_cndmask_b32_e32 v10, v13, v11, vcc_lo
	v_cmp_ne_u32_e32 vcc_lo, 0, v7
	v_cndmask_b32_e32 v35, v9, v8, vcc_lo
	v_cndmask_b32_e32 v34, v4, v10, vcc_lo
.LBB0_4:                                ;   in Loop: Header=BB0_2 Depth=1
	s_andn2_saveexec_b32 s0, s1
	s_cbranch_execz .LBB0_6
; %bb.5:                                ;   in Loop: Header=BB0_2 Depth=1
	v_cvt_f32_u32_e32 v4, s24
	s_sub_i32 s1, 0, s24
	v_mov_b32_e32 v35, v3
	v_rcp_iflag_f32_e32 v4, v4
	v_mul_f32_e32 v4, 0x4f7ffffe, v4
	v_cvt_u32_f32_e32 v4, v4
	v_mul_lo_u32 v7, s1, v4
	v_mul_hi_u32 v7, v4, v7
	v_add_nc_u32_e32 v4, v4, v7
	v_mul_hi_u32 v4, v5, v4
	v_mul_lo_u32 v7, v4, s24
	v_add_nc_u32_e32 v8, 1, v4
	v_sub_nc_u32_e32 v7, v5, v7
	v_subrev_nc_u32_e32 v9, s24, v7
	v_cmp_le_u32_e32 vcc_lo, s24, v7
	v_cndmask_b32_e32 v7, v7, v9, vcc_lo
	v_cndmask_b32_e32 v4, v4, v8, vcc_lo
	v_cmp_le_u32_e32 vcc_lo, s24, v7
	v_add_nc_u32_e32 v8, 1, v4
	v_cndmask_b32_e32 v34, v4, v8, vcc_lo
.LBB0_6:                                ;   in Loop: Header=BB0_2 Depth=1
	s_or_b32 exec_lo, exec_lo, s0
	v_mul_lo_u32 v4, v35, s24
	v_mul_lo_u32 v9, v34, s25
	s_load_dwordx2 s[0:1], s[6:7], 0x0
	v_mad_u64_u32 v[7:8], null, v34, s24, 0
	s_load_dwordx2 s[24:25], s[2:3], 0x0
	s_add_u32 s22, s22, 1
	s_addc_u32 s23, s23, 0
	s_add_u32 s2, s2, 8
	s_addc_u32 s3, s3, 0
	s_add_u32 s6, s6, 8
	v_add3_u32 v4, v8, v9, v4
	v_sub_co_u32 v5, vcc_lo, v5, v7
	s_addc_u32 s7, s7, 0
	s_add_u32 s20, s20, 8
	v_sub_co_ci_u32_e32 v4, vcc_lo, v6, v4, vcc_lo
	s_addc_u32 s21, s21, 0
	s_waitcnt lgkmcnt(0)
	v_mul_lo_u32 v6, s0, v4
	v_mul_lo_u32 v7, s1, v5
	v_mad_u64_u32 v[1:2], null, s0, v5, v[1:2]
	v_mul_lo_u32 v4, s24, v4
	v_mul_lo_u32 v8, s25, v5
	v_mad_u64_u32 v[32:33], null, s24, v5, v[32:33]
	v_cmp_ge_u64_e64 s0, s[22:23], s[14:15]
	v_add3_u32 v2, v7, v2, v6
	v_add3_u32 v33, v8, v33, v4
	s_and_b32 vcc_lo, exec_lo, s0
	s_cbranch_vccnz .LBB0_9
; %bb.7:                                ;   in Loop: Header=BB0_2 Depth=1
	v_mov_b32_e32 v5, v34
	v_mov_b32_e32 v6, v35
	s_branch .LBB0_2
.LBB0_8:
	v_mov_b32_e32 v33, v2
	v_mov_b32_e32 v35, v6
	;; [unrolled: 1-line block ×4, first 2 shown]
.LBB0_9:
	s_load_dwordx2 s[0:1], s[4:5], 0x28
	v_mul_hi_u32 v3, 0x4924925, v0
	s_lshl_b64 s[4:5], s[14:15], 3
                                        ; implicit-def: $vgpr36
	s_add_u32 s2, s18, s4
	s_addc_u32 s3, s19, s5
	s_waitcnt lgkmcnt(0)
	v_cmp_gt_u64_e32 vcc_lo, s[0:1], v[34:35]
	v_cmp_le_u64_e64 s0, s[0:1], v[34:35]
	s_and_saveexec_b32 s1, s0
	s_xor_b32 s0, exec_lo, s1
; %bb.10:
	v_mul_u32_u24_e32 v1, 56, v3
                                        ; implicit-def: $vgpr3
	v_sub_nc_u32_e32 v36, v0, v1
                                        ; implicit-def: $vgpr0
                                        ; implicit-def: $vgpr1_vgpr2
; %bb.11:
	s_or_saveexec_b32 s1, s0
	s_load_dwordx2 s[2:3], s[2:3], 0x0
	s_xor_b32 exec_lo, exec_lo, s1
	s_cbranch_execz .LBB0_15
; %bb.12:
	s_add_u32 s4, s16, s4
	s_addc_u32 s5, s17, s5
	v_lshlrev_b64 v[1:2], 4, v[1:2]
	s_load_dwordx2 s[4:5], s[4:5], 0x0
	s_waitcnt lgkmcnt(0)
	v_mul_lo_u32 v6, s5, v34
	v_mul_lo_u32 v7, s4, v35
	v_mad_u64_u32 v[4:5], null, s4, v34, 0
	s_mov_b32 s4, exec_lo
	v_add3_u32 v5, v5, v7, v6
	v_mul_u32_u24_e32 v6, 56, v3
	v_lshlrev_b64 v[3:4], 4, v[4:5]
	v_sub_nc_u32_e32 v36, v0, v6
	v_lshlrev_b32_e32 v22, 4, v36
	v_add_co_u32 v0, s0, s8, v3
	v_add_co_ci_u32_e64 v3, s0, s9, v4, s0
	v_add_co_u32 v0, s0, v0, v1
	v_add_co_ci_u32_e64 v1, s0, v3, v2, s0
	;; [unrolled: 2-line block ×3, first 2 shown]
	v_add_nc_u32_e32 v22, 0, v22
	v_add_co_u32 v18, s0, 0x800, v10
	v_add_co_ci_u32_e64 v19, s0, 0, v11, s0
	s_clause 0x4
	global_load_dwordx4 v[2:5], v[10:11], off
	global_load_dwordx4 v[6:9], v[10:11], off offset:896
	global_load_dwordx4 v[10:13], v[10:11], off offset:1792
	;; [unrolled: 1-line block ×4, first 2 shown]
	s_waitcnt vmcnt(4)
	ds_write_b128 v22, v[2:5]
	s_waitcnt vmcnt(3)
	ds_write_b128 v22, v[6:9] offset:896
	s_waitcnt vmcnt(2)
	ds_write_b128 v22, v[10:13] offset:1792
	;; [unrolled: 2-line block ×4, first 2 shown]
	v_cmpx_eq_u32_e32 55, v36
	s_cbranch_execz .LBB0_14
; %bb.13:
	v_add_co_u32 v0, s0, 0x1000, v0
	v_add_co_ci_u32_e64 v1, s0, 0, v1, s0
	v_mov_b32_e32 v4, 0
	v_mov_b32_e32 v36, 55
	global_load_dwordx4 v[0:3], v[0:1], off offset:384
	s_waitcnt vmcnt(0)
	ds_write_b128 v4, v[0:3] offset:4480
.LBB0_14:
	s_or_b32 exec_lo, exec_lo, s4
.LBB0_15:
	s_or_b32 exec_lo, exec_lo, s1
	v_lshlrev_b32_e32 v0, 4, v36
	s_waitcnt lgkmcnt(0)
	s_barrier
	buffer_gl0_inv
	s_add_u32 s1, s12, 0x1100
	v_add_nc_u32_e32 v38, 0, v0
	v_sub_nc_u32_e32 v6, 0, v0
	s_addc_u32 s4, s13, 0
	s_mov_b32 s5, exec_lo
	ds_read_b64 v[2:3], v38
	ds_read_b64 v[4:5], v6 offset:4480
	s_waitcnt lgkmcnt(0)
	v_add_f64 v[0:1], v[2:3], v[4:5]
	v_add_f64 v[2:3], v[2:3], -v[4:5]
                                        ; implicit-def: $vgpr4_vgpr5
	v_cmpx_ne_u32_e32 0, v36
	s_xor_b32 s5, exec_lo, s5
	s_cbranch_execz .LBB0_17
; %bb.16:
	v_mov_b32_e32 v37, 0
	v_lshlrev_b64 v[4:5], 4, v[36:37]
	v_add_co_u32 v4, s0, s1, v4
	v_add_co_ci_u32_e64 v5, s0, s4, v5, s0
	global_load_dwordx4 v[7:10], v[4:5], off
	ds_read_b64 v[4:5], v6 offset:4488
	ds_read_b64 v[11:12], v38 offset:8
	s_waitcnt lgkmcnt(0)
	v_add_f64 v[13:14], v[4:5], v[11:12]
	v_add_f64 v[4:5], v[11:12], -v[4:5]
	s_waitcnt vmcnt(0)
	v_fma_f64 v[11:12], v[2:3], v[9:10], v[0:1]
	v_fma_f64 v[15:16], v[13:14], v[9:10], v[4:5]
	v_fma_f64 v[0:1], -v[2:3], v[9:10], v[0:1]
	v_fma_f64 v[4:5], v[13:14], v[9:10], -v[4:5]
	v_fma_f64 v[9:10], -v[13:14], v[7:8], v[11:12]
	v_fma_f64 v[11:12], v[2:3], v[7:8], v[15:16]
	v_fma_f64 v[0:1], v[13:14], v[7:8], v[0:1]
	;; [unrolled: 1-line block ×3, first 2 shown]
	v_mov_b32_e32 v4, v36
	v_mov_b32_e32 v5, v37
	ds_write_b128 v38, v[9:12]
	ds_write_b128 v6, v[0:3] offset:4480
                                        ; implicit-def: $vgpr0_vgpr1
.LBB0_17:
	s_andn2_saveexec_b32 s0, s5
	s_cbranch_execz .LBB0_19
; %bb.18:
	v_mov_b32_e32 v7, 0
	ds_write_b128 v38, v[0:3]
	v_mov_b32_e32 v4, 0
	v_mov_b32_e32 v5, 0
	ds_read_b128 v[0:3], v7 offset:2240
	s_waitcnt lgkmcnt(0)
	v_add_f64 v[0:1], v[0:1], v[0:1]
	v_mul_f64 v[2:3], v[2:3], -2.0
	ds_write_b128 v7, v[0:3] offset:2240
.LBB0_19:
	s_or_b32 exec_lo, exec_lo, s0
	v_lshlrev_b64 v[0:1], 4, v[4:5]
	v_add_co_u32 v0, s0, s1, v0
	v_add_co_ci_u32_e64 v1, s0, s4, v1, s0
	s_mov_b32 s1, exec_lo
	global_load_dwordx4 v[2:5], v[0:1], off offset:896
	ds_read_b128 v[7:10], v38 offset:896
	ds_read_b128 v[11:14], v6 offset:3584
	s_waitcnt lgkmcnt(0)
	v_add_f64 v[15:16], v[7:8], v[11:12]
	v_add_f64 v[17:18], v[13:14], v[9:10]
	v_add_f64 v[19:20], v[7:8], -v[11:12]
	v_add_f64 v[7:8], v[9:10], -v[13:14]
	s_waitcnt vmcnt(0)
	v_fma_f64 v[9:10], v[19:20], v[4:5], v[15:16]
	v_fma_f64 v[11:12], v[17:18], v[4:5], v[7:8]
	v_fma_f64 v[13:14], -v[19:20], v[4:5], v[15:16]
	v_fma_f64 v[4:5], v[17:18], v[4:5], -v[7:8]
	v_fma_f64 v[7:8], -v[17:18], v[2:3], v[9:10]
	v_fma_f64 v[9:10], v[19:20], v[2:3], v[11:12]
	v_fma_f64 v[11:12], v[17:18], v[2:3], v[13:14]
	;; [unrolled: 1-line block ×3, first 2 shown]
	ds_write_b128 v38, v[7:10] offset:896
	ds_write_b128 v6, v[11:14] offset:3584
	v_cmpx_gt_u32_e32 28, v36
	s_cbranch_execz .LBB0_21
; %bb.20:
	global_load_dwordx4 v[0:3], v[0:1], off offset:1792
	ds_read_b128 v[7:10], v38 offset:1792
	ds_read_b128 v[11:14], v6 offset:2688
	s_waitcnt lgkmcnt(0)
	v_add_f64 v[4:5], v[7:8], v[11:12]
	v_add_f64 v[15:16], v[13:14], v[9:10]
	v_add_f64 v[11:12], v[7:8], -v[11:12]
	v_add_f64 v[7:8], v[9:10], -v[13:14]
	s_waitcnt vmcnt(0)
	v_fma_f64 v[9:10], v[11:12], v[2:3], v[4:5]
	v_fma_f64 v[13:14], v[15:16], v[2:3], v[7:8]
	v_fma_f64 v[17:18], -v[11:12], v[2:3], v[4:5]
	v_fma_f64 v[19:20], v[15:16], v[2:3], -v[7:8]
	v_fma_f64 v[2:3], -v[15:16], v[0:1], v[9:10]
	v_fma_f64 v[4:5], v[11:12], v[0:1], v[13:14]
	v_fma_f64 v[7:8], v[15:16], v[0:1], v[17:18]
	;; [unrolled: 1-line block ×3, first 2 shown]
	ds_write_b128 v38, v[2:5] offset:1792
	ds_write_b128 v6, v[7:10] offset:2688
.LBB0_21:
	s_or_b32 exec_lo, exec_lo, s1
	s_waitcnt lgkmcnt(0)
	s_barrier
	buffer_gl0_inv
	s_barrier
	buffer_gl0_inv
	ds_read_b128 v[0:3], v38 offset:2240
	ds_read_b128 v[4:7], v38
	ds_read_b128 v[8:11], v38 offset:1120
	ds_read_b128 v[12:15], v38 offset:3360
	;; [unrolled: 1-line block ×6, first 2 shown]
	s_mov_b32 s0, 0x667f3bcd
	s_mov_b32 s1, 0xbfe6a09e
	s_mov_b32 s5, 0x3fe6a09e
	s_mov_b32 s4, s0
	s_waitcnt lgkmcnt(0)
	s_barrier
	buffer_gl0_inv
	v_add_f64 v[0:1], v[4:5], -v[0:1]
	v_add_f64 v[2:3], v[6:7], -v[2:3]
	;; [unrolled: 1-line block ×8, first 2 shown]
	v_fma_f64 v[4:5], v[4:5], 2.0, -v[0:1]
	v_fma_f64 v[6:7], v[6:7], 2.0, -v[2:3]
	;; [unrolled: 1-line block ×6, first 2 shown]
	v_add_f64 v[39:40], v[0:1], v[14:15]
	v_add_f64 v[41:42], v[2:3], -v[12:13]
	v_fma_f64 v[12:13], v[24:25], 2.0, -v[28:29]
	v_fma_f64 v[14:15], v[26:27], 2.0, -v[30:31]
	v_add_f64 v[30:31], v[20:21], v[30:31]
	v_add_f64 v[24:25], v[22:23], -v[28:29]
	v_add_f64 v[8:9], v[4:5], -v[8:9]
	;; [unrolled: 1-line block ×3, first 2 shown]
	v_fma_f64 v[43:44], v[0:1], 2.0, -v[39:40]
	v_fma_f64 v[45:46], v[2:3], 2.0, -v[41:42]
	v_add_f64 v[0:1], v[16:17], -v[12:13]
	v_add_f64 v[2:3], v[18:19], -v[14:15]
	v_fma_f64 v[26:27], v[20:21], 2.0, -v[30:31]
	v_fma_f64 v[47:48], v[22:23], 2.0, -v[24:25]
	v_fma_f64 v[12:13], v[30:31], s[4:5], v[39:40]
	v_fma_f64 v[51:52], v[24:25], s[4:5], v[41:42]
	v_fma_f64 v[4:5], v[4:5], 2.0, -v[8:9]
	v_fma_f64 v[6:7], v[6:7], 2.0, -v[10:11]
	v_fma_f64 v[14:15], v[16:17], 2.0, -v[0:1]
	v_fma_f64 v[16:17], v[18:19], 2.0, -v[2:3]
	v_fma_f64 v[18:19], v[26:27], s[0:1], v[43:44]
	v_fma_f64 v[49:50], v[47:48], s[0:1], v[45:46]
	v_add_f64 v[20:21], v[8:9], v[2:3]
	v_add_f64 v[22:23], v[10:11], -v[0:1]
	v_fma_f64 v[28:29], v[24:25], s[4:5], v[12:13]
	v_fma_f64 v[30:31], v[30:31], s[0:1], v[51:52]
	v_add_f64 v[12:13], v[4:5], -v[14:15]
	v_add_f64 v[14:15], v[6:7], -v[16:17]
	v_fma_f64 v[24:25], v[47:48], s[4:5], v[18:19]
	v_fma_f64 v[26:27], v[26:27], s[0:1], v[49:50]
	v_fma_f64 v[16:17], v[8:9], 2.0, -v[20:21]
	v_fma_f64 v[18:19], v[10:11], 2.0, -v[22:23]
	;; [unrolled: 1-line block ×4, first 2 shown]
	s_mov_b32 s1, exec_lo
	v_fma_f64 v[0:1], v[4:5], 2.0, -v[12:13]
	v_fma_f64 v[2:3], v[6:7], 2.0, -v[14:15]
	v_fma_f64 v[4:5], v[43:44], 2.0, -v[24:25]
	v_fma_f64 v[6:7], v[45:46], 2.0, -v[26:27]
	v_cmpx_gt_u32_e32 35, v36
	s_cbranch_execz .LBB0_23
; %bb.22:
	v_mad_u32_u24 v37, 0x70, v36, v38
	ds_write_b128 v37, v[0:3]
	ds_write_b128 v37, v[4:7] offset:16
	ds_write_b128 v37, v[16:19] offset:32
	;; [unrolled: 1-line block ×7, first 2 shown]
.LBB0_23:
	s_or_b32 exec_lo, exec_lo, s1
	v_cmp_gt_u32_e64 s0, 40, v36
	s_waitcnt lgkmcnt(0)
	s_barrier
	buffer_gl0_inv
	s_and_saveexec_b32 s1, s0
	s_cbranch_execz .LBB0_25
; %bb.24:
	ds_read_b128 v[0:3], v38
	ds_read_b128 v[4:7], v38 offset:640
	ds_read_b128 v[16:19], v38 offset:1280
	ds_read_b128 v[8:11], v38 offset:1920
	ds_read_b128 v[12:15], v38 offset:2560
	ds_read_b128 v[24:27], v38 offset:3200
	ds_read_b128 v[20:23], v38 offset:3840
.LBB0_25:
	s_or_b32 exec_lo, exec_lo, s1
	s_waitcnt lgkmcnt(0)
	s_barrier
	buffer_gl0_inv
	s_and_saveexec_b32 s1, s0
	s_cbranch_execz .LBB0_27
; %bb.26:
	v_and_b32_e32 v37, 7, v36
	s_mov_b32 s4, 0xe976ee23
	s_mov_b32 s5, 0x3fe11646
	;; [unrolled: 1-line block ×4, first 2 shown]
	v_mul_u32_u24_e32 v28, 6, v37
	s_mov_b32 s8, 0x429ad128
	s_mov_b32 s9, 0xbfebfeb5
	;; [unrolled: 1-line block ×4, first 2 shown]
	v_lshlrev_b32_e32 v55, 4, v28
	s_mov_b32 s16, 0x5476071b
	s_mov_b32 s15, 0xbff2aaaa
	s_clause 0x5
	global_load_dwordx4 v[28:31], v55, s[12:13] offset:16
	global_load_dwordx4 v[39:42], v55, s[12:13] offset:64
	global_load_dwordx4 v[43:46], v55, s[12:13]
	global_load_dwordx4 v[47:50], v55, s[12:13] offset:80
	global_load_dwordx4 v[51:54], v55, s[12:13] offset:48
	;; [unrolled: 1-line block ×3, first 2 shown]
	s_waitcnt vmcnt(5)
	v_mul_f64 v[59:60], v[18:19], v[30:31]
	v_mul_f64 v[30:31], v[16:17], v[30:31]
	v_fma_f64 v[16:17], v[16:17], v[28:29], v[59:60]
	v_fma_f64 v[18:19], v[18:19], v[28:29], -v[30:31]
	s_waitcnt vmcnt(4)
	v_mul_f64 v[28:29], v[26:27], v[41:42]
	v_mul_f64 v[30:31], v[24:25], v[41:42]
	s_waitcnt vmcnt(3)
	v_mul_f64 v[41:42], v[6:7], v[45:46]
	v_mul_f64 v[45:46], v[4:5], v[45:46]
	v_fma_f64 v[24:25], v[24:25], v[39:40], v[28:29]
	v_fma_f64 v[26:27], v[26:27], v[39:40], -v[30:31]
	s_waitcnt vmcnt(2)
	v_mul_f64 v[28:29], v[20:21], v[49:50]
	v_mul_f64 v[30:31], v[22:23], v[49:50]
	s_waitcnt vmcnt(1)
	v_mul_f64 v[39:40], v[14:15], v[53:54]
	s_waitcnt vmcnt(0)
	v_mul_f64 v[49:50], v[10:11], v[57:58]
	v_fma_f64 v[4:5], v[4:5], v[43:44], v[41:42]
	v_fma_f64 v[6:7], v[6:7], v[43:44], -v[45:46]
	v_mul_f64 v[41:42], v[8:9], v[57:58]
	v_mul_f64 v[43:44], v[12:13], v[53:54]
	v_fma_f64 v[22:23], v[22:23], v[47:48], -v[28:29]
	v_fma_f64 v[20:21], v[20:21], v[47:48], v[30:31]
	v_fma_f64 v[12:13], v[12:13], v[51:52], v[39:40]
	;; [unrolled: 1-line block ×3, first 2 shown]
	v_add_f64 v[28:29], v[18:19], v[26:27]
	v_add_f64 v[39:40], v[16:17], v[24:25]
	v_fma_f64 v[10:11], v[10:11], v[55:56], -v[41:42]
	v_fma_f64 v[14:15], v[14:15], v[51:52], -v[43:44]
	v_add_f64 v[16:17], v[16:17], -v[24:25]
	v_add_f64 v[30:31], v[6:7], v[22:23]
	v_add_f64 v[41:42], v[4:5], v[20:21]
	v_add_f64 v[4:5], v[4:5], -v[20:21]
	v_add_f64 v[43:44], v[12:13], -v[8:9]
	v_add_f64 v[8:9], v[8:9], v[12:13]
	v_add_f64 v[6:7], v[6:7], -v[22:23]
	v_add_f64 v[24:25], v[10:11], v[14:15]
	v_add_f64 v[10:11], v[14:15], -v[10:11]
	v_add_f64 v[14:15], v[18:19], -v[26:27]
	v_add_f64 v[12:13], v[28:29], v[30:31]
	v_add_f64 v[18:19], v[39:40], v[41:42]
	v_add_f64 v[47:48], v[16:17], -v[4:5]
	v_add_f64 v[20:21], v[43:44], -v[16:17]
	;; [unrolled: 1-line block ×3, first 2 shown]
	v_add_f64 v[16:17], v[43:44], v[16:17]
	v_add_f64 v[43:44], v[4:5], -v[43:44]
	v_add_f64 v[22:23], v[30:31], -v[24:25]
	;; [unrolled: 1-line block ×5, first 2 shown]
	v_add_f64 v[10:11], v[10:11], v[14:15]
	v_add_f64 v[12:13], v[24:25], v[12:13]
	;; [unrolled: 1-line block ×3, first 2 shown]
	v_add_f64 v[24:25], v[24:25], -v[28:29]
	v_add_f64 v[8:9], v[8:9], -v[39:40]
	v_mul_f64 v[20:21], v[20:21], s[4:5]
	v_add_f64 v[28:29], v[28:29], -v[30:31]
	v_add_f64 v[30:31], v[39:40], -v[41:42]
	v_mul_f64 v[22:23], v[22:23], s[6:7]
	v_mul_f64 v[39:40], v[45:46], s[6:7]
	;; [unrolled: 1-line block ×3, first 2 shown]
	s_mov_b32 s4, 0x36b3c0b5
	s_mov_b32 s5, 0x3fac98ee
	v_mul_f64 v[41:42], v[47:48], s[8:9]
	v_mul_f64 v[45:46], v[49:50], s[8:9]
	s_mov_b32 s7, 0xbfd5d0dc
	s_mov_b32 s6, 0xb247c609
	v_add_f64 v[4:5], v[16:17], v[4:5]
	v_add_f64 v[6:7], v[10:11], v[6:7]
	;; [unrolled: 1-line block ×4, first 2 shown]
	v_mul_f64 v[14:15], v[24:25], s[4:5]
	v_mul_f64 v[53:54], v[8:9], s[4:5]
	v_fma_f64 v[16:17], v[43:44], s[6:7], v[20:21]
	v_fma_f64 v[20:21], v[47:48], s[8:9], -v[20:21]
	v_fma_f64 v[24:25], v[24:25], s[4:5], v[22:23]
	v_fma_f64 v[22:23], v[28:29], s[16:17], -v[22:23]
	v_fma_f64 v[55:56], v[51:52], s[6:7], v[26:27]
	s_mov_b32 s7, 0x3fd5d0dc
	v_fma_f64 v[57:58], v[30:31], s[16:17], -v[39:40]
	s_mov_b32 s17, 0x3fe77f67
	v_fma_f64 v[8:9], v[8:9], s[4:5], v[39:40]
	v_fma_f64 v[41:42], v[43:44], s[6:7], -v[41:42]
	s_mov_b32 s4, 0x37c3f68c
	s_mov_b32 s5, 0xbfdc38aa
	v_fma_f64 v[12:13], v[12:13], s[14:15], v[2:3]
	v_fma_f64 v[18:19], v[18:19], s[14:15], v[0:1]
	v_fma_f64 v[10:11], v[28:29], s[16:17], -v[14:15]
	v_fma_f64 v[14:15], v[49:50], s[8:9], -v[26:27]
	;; [unrolled: 1-line block ×4, first 2 shown]
	v_fma_f64 v[16:17], v[4:5], s[4:5], v[16:17]
	v_fma_f64 v[20:21], v[4:5], s[4:5], v[20:21]
	v_lshrrev_b32_e32 v45, 3, v36
	v_fma_f64 v[30:31], v[6:7], s[4:5], v[55:56]
	v_fma_f64 v[4:5], v[4:5], s[4:5], v[41:42]
	v_add_f64 v[24:25], v[24:25], v[12:13]
	v_add_f64 v[43:44], v[8:9], v[18:19]
	;; [unrolled: 1-line block ×4, first 2 shown]
	v_fma_f64 v[41:42], v[6:7], s[4:5], v[26:27]
	v_add_f64 v[8:9], v[57:58], v[18:19]
	v_fma_f64 v[39:40], v[6:7], s[4:5], v[14:15]
	v_add_f64 v[28:29], v[28:29], v[18:19]
	v_add_f64 v[6:7], v[16:17], v[24:25]
	v_add_f64 v[26:27], v[24:25], -v[16:17]
	v_add_f64 v[24:25], v[30:31], v[43:44]
	v_add_f64 v[10:11], v[4:5], v[22:23]
	v_add_f64 v[14:15], v[12:13], -v[20:21]
	v_add_f64 v[18:19], v[20:21], v[12:13]
	v_add_f64 v[22:23], v[22:23], -v[4:5]
	v_add_f64 v[20:21], v[41:42], v[8:9]
	v_add_f64 v[16:17], v[28:29], -v[39:40]
	v_add_f64 v[12:13], v[39:40], v[28:29]
	v_add_f64 v[8:9], v[8:9], -v[41:42]
	v_add_f64 v[4:5], v[43:44], -v[30:31]
	v_mul_u32_u24_e32 v28, 56, v45
	v_or_b32_e32 v28, v28, v37
	v_lshl_add_u32 v28, v28, 4, 0
	ds_write_b128 v28, v[0:3]
	ds_write_b128 v28, v[24:27] offset:128
	ds_write_b128 v28, v[20:23] offset:256
	;; [unrolled: 1-line block ×6, first 2 shown]
.LBB0_27:
	s_or_b32 exec_lo, exec_lo, s1
	v_lshlrev_b32_e32 v0, 2, v36
	v_mov_b32_e32 v1, 0
	s_waitcnt lgkmcnt(0)
	s_barrier
	buffer_gl0_inv
	s_mov_b32 s5, 0x3fee6f0e
	v_lshlrev_b64 v[2:3], 4, v[0:1]
	v_add_co_u32 v14, s0, s12, v2
	v_add_co_ci_u32_e64 v15, s0, s13, v3, s0
	s_mov_b32 s0, 0x134454ff
	s_mov_b32 s1, 0xbfee6f0e
	s_clause 0x3
	global_load_dwordx4 v[2:5], v[14:15], off offset:768
	global_load_dwordx4 v[6:9], v[14:15], off offset:784
	;; [unrolled: 1-line block ×4, first 2 shown]
	ds_read_b128 v[18:21], v38 offset:896
	ds_read_b128 v[22:25], v38 offset:1792
	;; [unrolled: 1-line block ×4, first 2 shown]
	s_mov_b32 s4, s0
	s_waitcnt vmcnt(3) lgkmcnt(3)
	v_mul_f64 v[30:31], v[20:21], v[4:5]
	s_waitcnt vmcnt(2) lgkmcnt(2)
	v_mul_f64 v[43:44], v[24:25], v[8:9]
	;; [unrolled: 2-line block ×4, first 2 shown]
	v_mul_f64 v[8:9], v[22:23], v[8:9]
	v_mul_f64 v[12:13], v[26:27], v[12:13]
	;; [unrolled: 1-line block ×4, first 2 shown]
	v_fma_f64 v[18:19], v[18:19], v[2:3], v[30:31]
	v_fma_f64 v[22:23], v[22:23], v[6:7], v[43:44]
	v_fma_f64 v[26:27], v[26:27], v[10:11], v[45:46]
	v_fma_f64 v[30:31], v[39:40], v[14:15], v[47:48]
	v_fma_f64 v[6:7], v[24:25], v[6:7], -v[8:9]
	v_fma_f64 v[8:9], v[28:29], v[10:11], -v[12:13]
	;; [unrolled: 1-line block ×4, first 2 shown]
	ds_read_b128 v[2:5], v38
	s_waitcnt lgkmcnt(0)
	s_barrier
	buffer_gl0_inv
	v_add_f64 v[12:13], v[22:23], v[26:27]
	v_add_f64 v[14:15], v[18:19], v[30:31]
	v_add_f64 v[45:46], v[18:19], -v[30:31]
	v_add_f64 v[16:17], v[6:7], v[8:9]
	v_add_f64 v[28:29], v[2:3], v[18:19]
	v_add_f64 v[24:25], v[20:21], v[10:11]
	v_add_f64 v[43:44], v[4:5], v[20:21]
	v_add_f64 v[39:40], v[20:21], -v[10:11]
	v_add_f64 v[41:42], v[6:7], -v[8:9]
	;; [unrolled: 1-line block ×8, first 2 shown]
	v_fma_f64 v[12:13], v[12:13], -0.5, v[2:3]
	v_fma_f64 v[2:3], v[14:15], -0.5, v[2:3]
	v_add_f64 v[14:15], v[22:23], -v[26:27]
	v_fma_f64 v[16:17], v[16:17], -0.5, v[4:5]
	v_fma_f64 v[4:5], v[24:25], -0.5, v[4:5]
	v_add_f64 v[24:25], v[18:19], -v[22:23]
	v_add_f64 v[18:19], v[22:23], -v[18:19]
	v_add_f64 v[22:23], v[28:29], v[22:23]
	v_add_f64 v[6:7], v[43:44], v[6:7]
	;; [unrolled: 1-line block ×3, first 2 shown]
	v_fma_f64 v[28:29], v[39:40], s[0:1], v[12:13]
	v_fma_f64 v[43:44], v[41:42], s[4:5], v[2:3]
	;; [unrolled: 1-line block ×8, first 2 shown]
	s_mov_b32 s0, 0x4755a5e
	s_mov_b32 s1, 0xbfe2cf23
	;; [unrolled: 1-line block ×4, first 2 shown]
	v_add_f64 v[22:23], v[22:23], v[26:27]
	v_add_f64 v[6:7], v[6:7], v[8:9]
	;; [unrolled: 1-line block ×5, first 2 shown]
	v_fma_f64 v[8:9], v[41:42], s[0:1], v[28:29]
	v_fma_f64 v[26:27], v[39:40], s[0:1], v[43:44]
	;; [unrolled: 1-line block ×8, first 2 shown]
	s_mov_b32 s0, 0x372fe950
	s_mov_b32 s1, 0x3fd3c6ef
	v_add_f64 v[2:3], v[22:23], v[30:31]
	v_add_f64 v[4:5], v[6:7], v[10:11]
	v_fma_f64 v[6:7], v[24:25], s[0:1], v[8:9]
	v_fma_f64 v[14:15], v[18:19], s[0:1], v[26:27]
	;; [unrolled: 1-line block ×8, first 2 shown]
	ds_write_b128 v38, v[2:5]
	ds_write_b128 v38, v[6:9] offset:896
	ds_write_b128 v38, v[14:17] offset:1792
	;; [unrolled: 1-line block ×4, first 2 shown]
	s_waitcnt lgkmcnt(0)
	s_barrier
	buffer_gl0_inv
	s_and_saveexec_b32 s0, vcc_lo
	s_cbranch_execz .LBB0_29
; %bb.28:
	v_mul_lo_u32 v0, s3, v34
	v_mul_lo_u32 v4, s2, v35
	v_mad_u64_u32 v[2:3], null, s2, v34, 0
	v_mov_b32_e32 v37, v1
	v_lshlrev_b64 v[10:11], 4, v[32:33]
	v_lshl_add_u32 v18, v36, 4, 0
	v_lshlrev_b64 v[12:13], 4, v[36:37]
	v_add3_u32 v3, v3, v4, v0
	v_add_nc_u32_e32 v0, 56, v36
	v_lshlrev_b64 v[14:15], 4, v[2:3]
	v_lshlrev_b64 v[16:17], 4, v[0:1]
	v_add_nc_u32_e32 v0, 0x70, v36
	ds_read_b128 v[2:5], v18
	ds_read_b128 v[6:9], v18 offset:896
	v_add_co_u32 v14, vcc_lo, s10, v14
	v_add_co_ci_u32_e32 v15, vcc_lo, s11, v15, vcc_lo
	v_lshlrev_b64 v[22:23], 4, v[0:1]
	v_add_co_u32 v30, vcc_lo, v14, v10
	v_add_co_ci_u32_e32 v31, vcc_lo, v15, v11, vcc_lo
	v_add_nc_u32_e32 v0, 0xa8, v36
	v_add_co_u32 v24, vcc_lo, v30, v12
	v_add_co_ci_u32_e32 v25, vcc_lo, v31, v13, vcc_lo
	v_add_co_u32 v26, vcc_lo, v30, v16
	v_add_co_ci_u32_e32 v27, vcc_lo, v31, v17, vcc_lo
	ds_read_b128 v[10:13], v18 offset:1792
	ds_read_b128 v[14:17], v18 offset:2688
	;; [unrolled: 1-line block ×3, first 2 shown]
	v_lshlrev_b64 v[28:29], 4, v[0:1]
	v_add_nc_u32_e32 v0, 0xe0, v36
	v_add_co_u32 v22, vcc_lo, v30, v22
	v_add_co_ci_u32_e32 v23, vcc_lo, v31, v23, vcc_lo
	v_lshlrev_b64 v[0:1], 4, v[0:1]
	v_add_co_u32 v28, vcc_lo, v30, v28
	v_add_co_ci_u32_e32 v29, vcc_lo, v31, v29, vcc_lo
	v_add_co_u32 v0, vcc_lo, v30, v0
	v_add_co_ci_u32_e32 v1, vcc_lo, v31, v1, vcc_lo
	s_waitcnt lgkmcnt(4)
	global_store_dwordx4 v[24:25], v[2:5], off
	s_waitcnt lgkmcnt(3)
	global_store_dwordx4 v[26:27], v[6:9], off
	;; [unrolled: 2-line block ×5, first 2 shown]
.LBB0_29:
	s_endpgm
	.section	.rodata,"a",@progbits
	.p2align	6, 0x0
	.amdhsa_kernel fft_rtc_back_len280_factors_8_7_5_wgs_56_tpt_56_dp_op_CI_CI_unitstride_sbrr_C2R_dirReg
		.amdhsa_group_segment_fixed_size 0
		.amdhsa_private_segment_fixed_size 0
		.amdhsa_kernarg_size 104
		.amdhsa_user_sgpr_count 6
		.amdhsa_user_sgpr_private_segment_buffer 1
		.amdhsa_user_sgpr_dispatch_ptr 0
		.amdhsa_user_sgpr_queue_ptr 0
		.amdhsa_user_sgpr_kernarg_segment_ptr 1
		.amdhsa_user_sgpr_dispatch_id 0
		.amdhsa_user_sgpr_flat_scratch_init 0
		.amdhsa_user_sgpr_private_segment_size 0
		.amdhsa_wavefront_size32 1
		.amdhsa_uses_dynamic_stack 0
		.amdhsa_system_sgpr_private_segment_wavefront_offset 0
		.amdhsa_system_sgpr_workgroup_id_x 1
		.amdhsa_system_sgpr_workgroup_id_y 0
		.amdhsa_system_sgpr_workgroup_id_z 0
		.amdhsa_system_sgpr_workgroup_info 0
		.amdhsa_system_vgpr_workitem_id 0
		.amdhsa_next_free_vgpr 61
		.amdhsa_next_free_sgpr 27
		.amdhsa_reserve_vcc 1
		.amdhsa_reserve_flat_scratch 0
		.amdhsa_float_round_mode_32 0
		.amdhsa_float_round_mode_16_64 0
		.amdhsa_float_denorm_mode_32 3
		.amdhsa_float_denorm_mode_16_64 3
		.amdhsa_dx10_clamp 1
		.amdhsa_ieee_mode 1
		.amdhsa_fp16_overflow 0
		.amdhsa_workgroup_processor_mode 1
		.amdhsa_memory_ordered 1
		.amdhsa_forward_progress 0
		.amdhsa_shared_vgpr_count 0
		.amdhsa_exception_fp_ieee_invalid_op 0
		.amdhsa_exception_fp_denorm_src 0
		.amdhsa_exception_fp_ieee_div_zero 0
		.amdhsa_exception_fp_ieee_overflow 0
		.amdhsa_exception_fp_ieee_underflow 0
		.amdhsa_exception_fp_ieee_inexact 0
		.amdhsa_exception_int_div_zero 0
	.end_amdhsa_kernel
	.text
.Lfunc_end0:
	.size	fft_rtc_back_len280_factors_8_7_5_wgs_56_tpt_56_dp_op_CI_CI_unitstride_sbrr_C2R_dirReg, .Lfunc_end0-fft_rtc_back_len280_factors_8_7_5_wgs_56_tpt_56_dp_op_CI_CI_unitstride_sbrr_C2R_dirReg
                                        ; -- End function
	.section	.AMDGPU.csdata,"",@progbits
; Kernel info:
; codeLenInByte = 5260
; NumSgprs: 29
; NumVgprs: 61
; ScratchSize: 0
; MemoryBound: 0
; FloatMode: 240
; IeeeMode: 1
; LDSByteSize: 0 bytes/workgroup (compile time only)
; SGPRBlocks: 3
; VGPRBlocks: 7
; NumSGPRsForWavesPerEU: 29
; NumVGPRsForWavesPerEU: 61
; Occupancy: 16
; WaveLimiterHint : 1
; COMPUTE_PGM_RSRC2:SCRATCH_EN: 0
; COMPUTE_PGM_RSRC2:USER_SGPR: 6
; COMPUTE_PGM_RSRC2:TRAP_HANDLER: 0
; COMPUTE_PGM_RSRC2:TGID_X_EN: 1
; COMPUTE_PGM_RSRC2:TGID_Y_EN: 0
; COMPUTE_PGM_RSRC2:TGID_Z_EN: 0
; COMPUTE_PGM_RSRC2:TIDIG_COMP_CNT: 0
	.text
	.p2alignl 6, 3214868480
	.fill 48, 4, 3214868480
	.type	__hip_cuid_ea9dc6026c715711,@object ; @__hip_cuid_ea9dc6026c715711
	.section	.bss,"aw",@nobits
	.globl	__hip_cuid_ea9dc6026c715711
__hip_cuid_ea9dc6026c715711:
	.byte	0                               ; 0x0
	.size	__hip_cuid_ea9dc6026c715711, 1

	.ident	"AMD clang version 19.0.0git (https://github.com/RadeonOpenCompute/llvm-project roc-6.4.0 25133 c7fe45cf4b819c5991fe208aaa96edf142730f1d)"
	.section	".note.GNU-stack","",@progbits
	.addrsig
	.addrsig_sym __hip_cuid_ea9dc6026c715711
	.amdgpu_metadata
---
amdhsa.kernels:
  - .args:
      - .actual_access:  read_only
        .address_space:  global
        .offset:         0
        .size:           8
        .value_kind:     global_buffer
      - .offset:         8
        .size:           8
        .value_kind:     by_value
      - .actual_access:  read_only
        .address_space:  global
        .offset:         16
        .size:           8
        .value_kind:     global_buffer
      - .actual_access:  read_only
        .address_space:  global
        .offset:         24
        .size:           8
        .value_kind:     global_buffer
      - .actual_access:  read_only
        .address_space:  global
        .offset:         32
        .size:           8
        .value_kind:     global_buffer
      - .offset:         40
        .size:           8
        .value_kind:     by_value
      - .actual_access:  read_only
        .address_space:  global
        .offset:         48
        .size:           8
        .value_kind:     global_buffer
      - .actual_access:  read_only
        .address_space:  global
        .offset:         56
        .size:           8
        .value_kind:     global_buffer
      - .offset:         64
        .size:           4
        .value_kind:     by_value
      - .actual_access:  read_only
        .address_space:  global
        .offset:         72
        .size:           8
        .value_kind:     global_buffer
      - .actual_access:  read_only
        .address_space:  global
        .offset:         80
        .size:           8
        .value_kind:     global_buffer
      - .actual_access:  read_only
        .address_space:  global
        .offset:         88
        .size:           8
        .value_kind:     global_buffer
      - .actual_access:  write_only
        .address_space:  global
        .offset:         96
        .size:           8
        .value_kind:     global_buffer
    .group_segment_fixed_size: 0
    .kernarg_segment_align: 8
    .kernarg_segment_size: 104
    .language:       OpenCL C
    .language_version:
      - 2
      - 0
    .max_flat_workgroup_size: 56
    .name:           fft_rtc_back_len280_factors_8_7_5_wgs_56_tpt_56_dp_op_CI_CI_unitstride_sbrr_C2R_dirReg
    .private_segment_fixed_size: 0
    .sgpr_count:     29
    .sgpr_spill_count: 0
    .symbol:         fft_rtc_back_len280_factors_8_7_5_wgs_56_tpt_56_dp_op_CI_CI_unitstride_sbrr_C2R_dirReg.kd
    .uniform_work_group_size: 1
    .uses_dynamic_stack: false
    .vgpr_count:     61
    .vgpr_spill_count: 0
    .wavefront_size: 32
    .workgroup_processor_mode: 1
amdhsa.target:   amdgcn-amd-amdhsa--gfx1030
amdhsa.version:
  - 1
  - 2
...

	.end_amdgpu_metadata
